;; amdgpu-corpus repo=ROCm/rocFFT kind=compiled arch=gfx906 opt=O3
	.text
	.amdgcn_target "amdgcn-amd-amdhsa--gfx906"
	.amdhsa_code_object_version 6
	.protected	fft_rtc_back_len770_factors_11_10_7_wgs_220_tpt_110_half_ip_CI_unitstride_sbrr_dirReg ; -- Begin function fft_rtc_back_len770_factors_11_10_7_wgs_220_tpt_110_half_ip_CI_unitstride_sbrr_dirReg
	.globl	fft_rtc_back_len770_factors_11_10_7_wgs_220_tpt_110_half_ip_CI_unitstride_sbrr_dirReg
	.p2align	8
	.type	fft_rtc_back_len770_factors_11_10_7_wgs_220_tpt_110_half_ip_CI_unitstride_sbrr_dirReg,@function
fft_rtc_back_len770_factors_11_10_7_wgs_220_tpt_110_half_ip_CI_unitstride_sbrr_dirReg: ; @fft_rtc_back_len770_factors_11_10_7_wgs_220_tpt_110_half_ip_CI_unitstride_sbrr_dirReg
; %bb.0:
	s_load_dwordx2 s[2:3], s[4:5], 0x50
	s_load_dwordx4 s[8:11], s[4:5], 0x0
	s_load_dwordx2 s[12:13], s[4:5], 0x18
	v_mul_u32_u24_e32 v1, 0x254, v0
	v_lshrrev_b32_e32 v11, 16, v1
	v_mov_b32_e32 v3, 0
	s_waitcnt lgkmcnt(0)
	v_cmp_lt_u64_e64 s[0:1], s[10:11], 2
	v_mov_b32_e32 v1, 0
	v_lshl_add_u32 v5, s6, 1, v11
	v_mov_b32_e32 v6, v3
	s_and_b64 vcc, exec, s[0:1]
	v_mov_b32_e32 v2, 0
	s_cbranch_vccnz .LBB0_8
; %bb.1:
	s_load_dwordx2 s[0:1], s[4:5], 0x10
	s_add_u32 s6, s12, 8
	s_addc_u32 s7, s13, 0
	v_mov_b32_e32 v1, 0
	v_mov_b32_e32 v2, 0
	s_waitcnt lgkmcnt(0)
	s_add_u32 s14, s0, 8
	s_addc_u32 s15, s1, 0
	s_mov_b64 s[16:17], 1
.LBB0_2:                                ; =>This Inner Loop Header: Depth=1
	s_load_dwordx2 s[18:19], s[14:15], 0x0
                                        ; implicit-def: $vgpr7_vgpr8
	s_waitcnt lgkmcnt(0)
	v_or_b32_e32 v4, s19, v6
	v_cmp_ne_u64_e32 vcc, 0, v[3:4]
	s_and_saveexec_b64 s[0:1], vcc
	s_xor_b64 s[20:21], exec, s[0:1]
	s_cbranch_execz .LBB0_4
; %bb.3:                                ;   in Loop: Header=BB0_2 Depth=1
	v_cvt_f32_u32_e32 v4, s18
	v_cvt_f32_u32_e32 v7, s19
	s_sub_u32 s0, 0, s18
	s_subb_u32 s1, 0, s19
	v_mac_f32_e32 v4, 0x4f800000, v7
	v_rcp_f32_e32 v4, v4
	v_mul_f32_e32 v4, 0x5f7ffffc, v4
	v_mul_f32_e32 v7, 0x2f800000, v4
	v_trunc_f32_e32 v7, v7
	v_mac_f32_e32 v4, 0xcf800000, v7
	v_cvt_u32_f32_e32 v7, v7
	v_cvt_u32_f32_e32 v4, v4
	v_mul_lo_u32 v8, s0, v7
	v_mul_hi_u32 v9, s0, v4
	v_mul_lo_u32 v12, s1, v4
	v_mul_lo_u32 v10, s0, v4
	v_add_u32_e32 v8, v9, v8
	v_add_u32_e32 v8, v8, v12
	v_mul_hi_u32 v9, v4, v10
	v_mul_lo_u32 v12, v4, v8
	v_mul_hi_u32 v14, v4, v8
	v_mul_hi_u32 v13, v7, v10
	v_mul_lo_u32 v10, v7, v10
	v_mul_hi_u32 v15, v7, v8
	v_add_co_u32_e32 v9, vcc, v9, v12
	v_addc_co_u32_e32 v12, vcc, 0, v14, vcc
	v_mul_lo_u32 v8, v7, v8
	v_add_co_u32_e32 v9, vcc, v9, v10
	v_addc_co_u32_e32 v9, vcc, v12, v13, vcc
	v_addc_co_u32_e32 v10, vcc, 0, v15, vcc
	v_add_co_u32_e32 v8, vcc, v9, v8
	v_addc_co_u32_e32 v9, vcc, 0, v10, vcc
	v_add_co_u32_e32 v4, vcc, v4, v8
	v_addc_co_u32_e32 v7, vcc, v7, v9, vcc
	v_mul_lo_u32 v8, s0, v7
	v_mul_hi_u32 v9, s0, v4
	v_mul_lo_u32 v10, s1, v4
	v_mul_lo_u32 v12, s0, v4
	v_add_u32_e32 v8, v9, v8
	v_add_u32_e32 v8, v8, v10
	v_mul_lo_u32 v13, v4, v8
	v_mul_hi_u32 v14, v4, v12
	v_mul_hi_u32 v15, v4, v8
	;; [unrolled: 1-line block ×3, first 2 shown]
	v_mul_lo_u32 v12, v7, v12
	v_mul_hi_u32 v9, v7, v8
	v_add_co_u32_e32 v13, vcc, v14, v13
	v_addc_co_u32_e32 v14, vcc, 0, v15, vcc
	v_mul_lo_u32 v8, v7, v8
	v_add_co_u32_e32 v12, vcc, v13, v12
	v_addc_co_u32_e32 v10, vcc, v14, v10, vcc
	v_addc_co_u32_e32 v9, vcc, 0, v9, vcc
	v_add_co_u32_e32 v8, vcc, v10, v8
	v_addc_co_u32_e32 v9, vcc, 0, v9, vcc
	v_add_co_u32_e32 v4, vcc, v4, v8
	v_addc_co_u32_e32 v9, vcc, v7, v9, vcc
	v_mad_u64_u32 v[7:8], s[0:1], v5, v9, 0
	v_mul_hi_u32 v10, v5, v4
	v_add_co_u32_e32 v12, vcc, v10, v7
	v_addc_co_u32_e32 v13, vcc, 0, v8, vcc
	v_mad_u64_u32 v[7:8], s[0:1], v6, v4, 0
	v_mad_u64_u32 v[9:10], s[0:1], v6, v9, 0
	v_add_co_u32_e32 v4, vcc, v12, v7
	v_addc_co_u32_e32 v4, vcc, v13, v8, vcc
	v_addc_co_u32_e32 v7, vcc, 0, v10, vcc
	v_add_co_u32_e32 v4, vcc, v4, v9
	v_addc_co_u32_e32 v9, vcc, 0, v7, vcc
	v_mul_lo_u32 v10, s19, v4
	v_mul_lo_u32 v12, s18, v9
	v_mad_u64_u32 v[7:8], s[0:1], s18, v4, 0
	v_add3_u32 v8, v8, v12, v10
	v_sub_u32_e32 v10, v6, v8
	v_mov_b32_e32 v12, s19
	v_sub_co_u32_e32 v7, vcc, v5, v7
	v_subb_co_u32_e64 v10, s[0:1], v10, v12, vcc
	v_subrev_co_u32_e64 v12, s[0:1], s18, v7
	v_subbrev_co_u32_e64 v10, s[0:1], 0, v10, s[0:1]
	v_cmp_le_u32_e64 s[0:1], s19, v10
	v_cndmask_b32_e64 v13, 0, -1, s[0:1]
	v_cmp_le_u32_e64 s[0:1], s18, v12
	v_cndmask_b32_e64 v12, 0, -1, s[0:1]
	v_cmp_eq_u32_e64 s[0:1], s19, v10
	v_cndmask_b32_e64 v10, v13, v12, s[0:1]
	v_add_co_u32_e64 v12, s[0:1], 2, v4
	v_addc_co_u32_e64 v13, s[0:1], 0, v9, s[0:1]
	v_add_co_u32_e64 v14, s[0:1], 1, v4
	v_addc_co_u32_e64 v15, s[0:1], 0, v9, s[0:1]
	v_subb_co_u32_e32 v8, vcc, v6, v8, vcc
	v_cmp_ne_u32_e64 s[0:1], 0, v10
	v_cmp_le_u32_e32 vcc, s19, v8
	v_cndmask_b32_e64 v10, v15, v13, s[0:1]
	v_cndmask_b32_e64 v13, 0, -1, vcc
	v_cmp_le_u32_e32 vcc, s18, v7
	v_cndmask_b32_e64 v7, 0, -1, vcc
	v_cmp_eq_u32_e32 vcc, s19, v8
	v_cndmask_b32_e32 v7, v13, v7, vcc
	v_cmp_ne_u32_e32 vcc, 0, v7
	v_cndmask_b32_e64 v7, v14, v12, s[0:1]
	v_cndmask_b32_e32 v8, v9, v10, vcc
	v_cndmask_b32_e32 v7, v4, v7, vcc
.LBB0_4:                                ;   in Loop: Header=BB0_2 Depth=1
	s_andn2_saveexec_b64 s[0:1], s[20:21]
	s_cbranch_execz .LBB0_6
; %bb.5:                                ;   in Loop: Header=BB0_2 Depth=1
	v_cvt_f32_u32_e32 v4, s18
	s_sub_i32 s20, 0, s18
	v_rcp_iflag_f32_e32 v4, v4
	v_mul_f32_e32 v4, 0x4f7ffffe, v4
	v_cvt_u32_f32_e32 v4, v4
	v_mul_lo_u32 v7, s20, v4
	v_mul_hi_u32 v7, v4, v7
	v_add_u32_e32 v4, v4, v7
	v_mul_hi_u32 v4, v5, v4
	v_mul_lo_u32 v7, v4, s18
	v_add_u32_e32 v8, 1, v4
	v_sub_u32_e32 v7, v5, v7
	v_subrev_u32_e32 v9, s18, v7
	v_cmp_le_u32_e32 vcc, s18, v7
	v_cndmask_b32_e32 v7, v7, v9, vcc
	v_cndmask_b32_e32 v4, v4, v8, vcc
	v_add_u32_e32 v8, 1, v4
	v_cmp_le_u32_e32 vcc, s18, v7
	v_cndmask_b32_e32 v7, v4, v8, vcc
	v_mov_b32_e32 v8, v3
.LBB0_6:                                ;   in Loop: Header=BB0_2 Depth=1
	s_or_b64 exec, exec, s[0:1]
	v_mul_lo_u32 v4, v8, s18
	v_mul_lo_u32 v12, v7, s19
	v_mad_u64_u32 v[9:10], s[0:1], v7, s18, 0
	s_load_dwordx2 s[0:1], s[6:7], 0x0
	s_add_u32 s16, s16, 1
	v_add3_u32 v4, v10, v12, v4
	v_sub_co_u32_e32 v5, vcc, v5, v9
	v_subb_co_u32_e32 v4, vcc, v6, v4, vcc
	s_waitcnt lgkmcnt(0)
	v_mul_lo_u32 v4, s0, v4
	v_mul_lo_u32 v6, s1, v5
	v_mad_u64_u32 v[1:2], s[0:1], s0, v5, v[1:2]
	s_addc_u32 s17, s17, 0
	s_add_u32 s6, s6, 8
	v_add3_u32 v2, v6, v2, v4
	v_mov_b32_e32 v4, s10
	v_mov_b32_e32 v5, s11
	s_addc_u32 s7, s7, 0
	v_cmp_ge_u64_e32 vcc, s[16:17], v[4:5]
	s_add_u32 s14, s14, 8
	s_addc_u32 s15, s15, 0
	s_cbranch_vccnz .LBB0_9
; %bb.7:                                ;   in Loop: Header=BB0_2 Depth=1
	v_mov_b32_e32 v5, v7
	v_mov_b32_e32 v6, v8
	s_branch .LBB0_2
.LBB0_8:
	v_mov_b32_e32 v8, v6
	v_mov_b32_e32 v7, v5
.LBB0_9:
	s_lshl_b64 s[0:1], s[10:11], 3
	s_add_u32 s0, s12, s0
	s_addc_u32 s1, s13, s1
	s_load_dwordx2 s[6:7], s[0:1], 0x0
	s_load_dwordx2 s[10:11], s[4:5], 0x20
	v_mov_b32_e32 v12, 0
                                        ; implicit-def: $vgpr13
                                        ; implicit-def: $vgpr18
                                        ; implicit-def: $vgpr19
                                        ; implicit-def: $vgpr20
                                        ; implicit-def: $vgpr21
                                        ; implicit-def: $vgpr22
                                        ; implicit-def: $vgpr23
                                        ; implicit-def: $vgpr24
                                        ; implicit-def: $vgpr25
	s_waitcnt lgkmcnt(0)
	v_mad_u64_u32 v[1:2], s[0:1], s6, v7, v[1:2]
	s_mov_b32 s0, 0x253c826
	v_mul_lo_u32 v3, s6, v8
	v_mul_lo_u32 v4, s7, v7
	v_mul_hi_u32 v5, v0, s0
	v_cmp_gt_u64_e32 vcc, s[10:11], v[7:8]
	v_add3_u32 v2, v4, v2, v3
	v_mul_u32_u24_e32 v3, 0x6e, v5
	v_sub_u32_e32 v4, v0, v3
	v_mov_b32_e32 v3, 0
                                        ; implicit-def: $vgpr0
	s_and_saveexec_b64 s[4:5], vcc
	s_cbranch_execz .LBB0_13
; %bb.10:
	s_movk_i32 s0, 0x46
	v_cmp_gt_u32_e64 s[0:1], s0, v4
	v_mov_b32_e32 v12, 0
                                        ; implicit-def: $vgpr25
                                        ; implicit-def: $vgpr24
                                        ; implicit-def: $vgpr23
                                        ; implicit-def: $vgpr22
                                        ; implicit-def: $vgpr21
                                        ; implicit-def: $vgpr20
                                        ; implicit-def: $vgpr19
                                        ; implicit-def: $vgpr18
                                        ; implicit-def: $vgpr13
                                        ; implicit-def: $vgpr0
	s_and_saveexec_b64 s[6:7], s[0:1]
	s_cbranch_execz .LBB0_12
; %bb.11:
	v_lshlrev_b64 v[6:7], 2, v[1:2]
	v_mov_b32_e32 v5, 0
	v_mov_b32_e32 v0, s3
	v_add_co_u32_e64 v3, s[0:1], s2, v6
	v_lshlrev_b64 v[5:6], 2, v[4:5]
	v_addc_co_u32_e64 v0, s[0:1], v0, v7, s[0:1]
	v_add_co_u32_e64 v5, s[0:1], v3, v5
	v_addc_co_u32_e64 v6, s[0:1], v0, v6, s[0:1]
	global_load_dword v12, v[5:6], off
	global_load_dword v20, v[5:6], off offset:280
	global_load_dword v21, v[5:6], off offset:560
	;; [unrolled: 1-line block ×10, first 2 shown]
.LBB0_12:
	s_or_b64 exec, exec, s[6:7]
	v_mov_b32_e32 v3, v4
.LBB0_13:
	s_or_b64 exec, exec, s[4:5]
	s_waitcnt vmcnt(0)
	v_pk_add_f16 v42, v20, v0
	v_pk_add_f16 v43, v20, v0 neg_lo:[0,1] neg_hi:[0,1]
	v_mul_f16_e32 v14, 0x3abb, v42
	v_lshrrev_b32_e32 v15, 16, v43
	s_mov_b32 s0, 0xb853
	v_pk_add_f16 v44, v21, v13
	v_pk_add_f16 v45, v21, v13 neg_lo:[0,1] neg_hi:[0,1]
	v_fma_f16 v5, v15, s0, v14
	s_mov_b32 s5, 0xbb47
	v_mul_f16_e32 v16, 0x36a6, v44
	v_lshrrev_b32_e32 v17, 16, v45
	v_pk_add_f16 v46, v22, v18
	v_pk_add_f16 v47, v22, v18 neg_lo:[0,1] neg_hi:[0,1]
	v_add_f16_e32 v5, v12, v5
	v_fma_f16 v6, v17, s5, v16
	s_mov_b32 s0, 0xbbeb
	v_mul_f16_e32 v26, 0xb08e, v46
	v_lshrrev_b32_e32 v27, 16, v47
	v_pk_add_f16 v48, v23, v19
	v_pk_add_f16 v49, v23, v19 neg_lo:[0,1] neg_hi:[0,1]
	v_add_f16_e32 v5, v5, v6
	v_fma_f16 v6, v27, s0, v26
	s_mov_b32 s1, 0xba0c
	v_mul_f16_e32 v28, 0xb93d, v48
	v_lshrrev_b32_e32 v29, 16, v49
	v_add_f16_e32 v5, v5, v6
	v_fma_f16 v6, v29, s1, v28
	v_add_f16_e32 v5, v5, v6
	s_movk_i32 s4, 0x36a6
	v_pk_mul_f16 v6, v43, s5 op_sel_hi:[1,0]
	v_pk_fma_f16 v32, v42, s4, v6 op_sel:[0,0,1] op_sel_hi:[1,0,0]
	v_pk_fma_f16 v33, v42, s4, v6 op_sel:[0,0,1] op_sel_hi:[1,0,0] neg_lo:[0,0,1] neg_hi:[0,0,1]
	s_mov_b32 s6, 0xffff
	s_mov_b32 s5, 0xb93d
	v_pk_mul_f16 v6, v45, s1 op_sel_hi:[1,0]
	v_pk_fma_f16 v36, v44, s5, v6 op_sel:[0,0,1] op_sel_hi:[1,0,0]
	v_pk_fma_f16 v37, v44, s5, v6 op_sel:[0,0,1] op_sel_hi:[1,0,0] neg_lo:[0,0,1] neg_hi:[0,0,1]
	v_bfi_b32 v6, s6, v32, v33
	v_pk_add_f16 v6, v12, v6
	v_bfi_b32 v7, s6, v36, v37
	s_movk_i32 s7, 0x3482
	v_pk_add_f16 v6, v6, v7
	s_mov_b32 s10, 0xbbad
	v_pk_mul_f16 v7, v47, s7 op_sel_hi:[1,0]
	v_pk_fma_f16 v38, v46, s10, v7 op_sel:[0,0,1] op_sel_hi:[1,0,0]
	v_pk_fma_f16 v39, v46, s10, v7 op_sel:[0,0,1] op_sel_hi:[1,0,0] neg_lo:[0,0,1] neg_hi:[0,0,1]
	v_bfi_b32 v7, s6, v38, v39
	s_movk_i32 s11, 0x3beb
	v_pk_add_f16 v6, v6, v7
	s_mov_b32 s7, 0xb08e
	v_pk_mul_f16 v7, v49, s11 op_sel_hi:[1,0]
	v_pk_fma_f16 v40, v48, s7, v7 op_sel:[0,0,1] op_sel_hi:[1,0,0]
	v_pk_fma_f16 v41, v48, s7, v7 op_sel:[0,0,1] op_sel_hi:[1,0,0] neg_lo:[0,0,1] neg_hi:[0,0,1]
	v_pk_add_f16 v50, v24, v25
	v_pk_add_f16 v51, v24, v25 neg_lo:[0,1] neg_hi:[0,1]
	v_bfi_b32 v7, s6, v40, v41
	s_mov_b32 s12, 0xb482
	v_mul_f16_e32 v30, 0xbbad, v50
	v_lshrrev_b32_e32 v31, 16, v51
	v_pk_add_f16 v6, v6, v7
	v_fma_f16 v7, v31, s12, v30
	s_movk_i32 s13, 0x3853
	s_movk_i32 s11, 0x3abb
	v_add_f16_e32 v5, v5, v7
	v_pk_mul_f16 v7, v51, s13 op_sel_hi:[1,0]
	v_pk_fma_f16 v52, v50, s11, v7 op_sel:[0,0,1] op_sel_hi:[1,0,0]
	v_pk_fma_f16 v53, v50, s11, v7 op_sel:[0,0,1] op_sel_hi:[1,0,0] neg_lo:[0,0,1] neg_hi:[0,0,1]
	v_bfi_b32 v7, s6, v52, v53
	v_mul_f16_e32 v9, 0xbbeb, v15
	v_pk_add_f16 v6, v6, v7
	v_fma_f16 v7, v42, s7, v9
	v_mul_f16_e32 v10, 0x3482, v17
	v_add_f16_e32 v7, v12, v7
	v_fma_f16 v8, v44, s10, v10
	v_mul_f16_e32 v34, 0xba0c, v15
	v_add_f16_e32 v7, v7, v8
	;; [unrolled: 3-line block ×3, first 2 shown]
	v_fma_f16 v54, v44, s7, v35
	v_add_f16_e32 v8, v8, v54
	v_mul_f16_e32 v54, 0x3b47, v27
	v_fma_f16 v55, v46, s4, v54
	v_add_f16_e32 v7, v7, v55
	v_mul_f16_e32 v55, 0xb853, v27
	v_fma_f16 v9, v42, s7, -v9
	v_fma_f16 v56, v46, s11, v55
	v_add_f16_e32 v9, v12, v9
	v_fma_f16 v10, v44, s10, -v10
	v_pk_add_f16 v20, v12, v20
	v_add_f16_e32 v8, v8, v56
	v_mul_f16_e32 v56, 0xb853, v29
	v_add_f16_e32 v9, v9, v10
	v_fma_f16 v10, v42, s5, -v34
	v_pk_add_f16 v20, v20, v21
	v_fma_f16 v57, v48, s11, v56
	v_add_f16_e32 v10, v12, v10
	v_fma_f16 v34, v44, s7, -v35
	v_pk_add_f16 v20, v20, v22
	v_add_f16_e32 v7, v7, v57
	v_mul_f16_e32 v57, 0xb482, v29
	v_add_f16_e32 v10, v10, v34
	v_fma_f16 v34, v46, s4, -v54
	v_pk_add_f16 v20, v20, v23
	;; [unrolled: 9-line block ×4, first 2 shown]
	v_add_f16_e32 v10, v9, v10
	v_fma_f16 v9, v50, s4, -v59
	v_pk_add_f16 v13, v13, v18
	v_add_f16_e32 v9, v34, v9
	v_pk_add_f16 v13, v0, v13
	v_bfi_b32 v0, s6, v33, v32
	v_lshrrev_b32_e32 v34, 16, v42
	v_mul_f16_e32 v32, 0xb853, v43
	v_fma_f16 v18, v34, s11, -v32
	v_lshrrev_b32_e32 v35, 16, v44
	v_mul_f16_e32 v33, 0xbb47, v45
	v_add_f16_sdwa v18, v12, v18 dst_sel:DWORD dst_unused:UNUSED_PAD src0_sel:WORD_1 src1_sel:DWORD
	v_fma_f16 v19, v35, s4, -v33
	v_add_f16_e32 v18, v18, v19
	v_bfi_b32 v19, s6, v37, v36
	v_pk_add_f16 v0, v12, v0
	v_pk_add_f16 v0, v0, v19
	v_mul_f16_e32 v19, 0xbbeb, v43
	v_fma_f16 v20, v34, s7, -v19
	v_mul_f16_e32 v21, 0x3482, v45
	v_fma_f16 v19, v34, s7, v19
	v_fma_f16 v22, v35, s10, -v21
	v_add_f16_sdwa v19, v12, v19 dst_sel:DWORD dst_unused:UNUSED_PAD src0_sel:WORD_1 src1_sel:DWORD
	v_fma_f16 v21, v35, s10, v21
	v_add_f16_sdwa v20, v12, v20 dst_sel:DWORD dst_unused:UNUSED_PAD src0_sel:WORD_1 src1_sel:DWORD
	v_add_f16_e32 v19, v19, v21
	v_mul_f16_e32 v21, 0xba0c, v43
	v_add_f16_e32 v20, v20, v22
	v_fma_f16 v22, v34, s5, -v21
	v_mul_f16_e32 v23, 0x3beb, v45
	v_fma_f16 v21, v34, s5, v21
	v_fma_f16 v24, v35, s7, -v23
	v_add_f16_sdwa v21, v12, v21 dst_sel:DWORD dst_unused:UNUSED_PAD src0_sel:WORD_1 src1_sel:DWORD
	v_fma_f16 v23, v35, s7, v23
	v_lshrrev_b32_e32 v37, 16, v46
	v_mul_f16_e32 v36, 0xbbeb, v47
	v_add_f16_e32 v21, v21, v23
	v_fma_f16 v23, v37, s7, -v36
	v_add_f16_e32 v18, v18, v23
	v_bfi_b32 v23, s6, v39, v38
	v_add_f16_sdwa v22, v12, v22 dst_sel:DWORD dst_unused:UNUSED_PAD src0_sel:WORD_1 src1_sel:DWORD
	v_pk_add_f16 v0, v0, v23
	v_mul_f16_e32 v23, 0x3b47, v47
	v_add_f16_e32 v22, v22, v24
	v_fma_f16 v24, v37, s4, -v23
	v_fma_f16 v23, v37, s4, v23
	v_add_f16_e32 v19, v19, v23
	v_mul_f16_e32 v23, 0xb853, v47
	v_add_f16_e32 v20, v20, v24
	v_fma_f16 v24, v37, s11, -v23
	v_fma_f16 v23, v37, s11, v23
	v_lshrrev_b32_e32 v39, 16, v48
	v_mul_f16_e32 v38, 0xba0c, v49
	v_add_f16_e32 v21, v21, v23
	v_fma_f16 v23, v39, s5, -v38
	v_add_f16_e32 v18, v18, v23
	v_bfi_b32 v23, s6, v41, v40
	v_pk_add_f16 v0, v0, v23
	v_mul_f16_e32 v23, 0xb853, v49
	v_add_f16_e32 v22, v22, v24
	v_fma_f16 v24, v39, s11, -v23
	v_fma_f16 v23, v39, s11, v23
	v_add_f16_e32 v23, v19, v23
	v_mul_f16_e32 v19, 0xb482, v49
	v_add_f16_e32 v20, v20, v24
	v_fma_f16 v24, v39, s10, -v19
	v_fma_f16 v19, v39, s10, v19
	v_lshrrev_b32_e32 v41, 16, v50
	v_mul_f16_e32 v40, 0xb482, v51
	v_add_f16_e32 v22, v22, v24
	v_add_f16_e32 v24, v21, v19
	v_fma_f16 v19, v41, s10, -v40
	v_add_f16_e32 v18, v18, v19
	v_bfi_b32 v19, s6, v53, v52
	v_pk_add_f16 v19, v0, v19
	v_mul_f16_e32 v0, 0xba0c, v51
	v_fma_f16 v21, v41, s5, -v0
	v_fma_f16 v0, v41, s5, v0
	v_add_f16_e32 v20, v20, v21
	v_add_f16_e32 v21, v23, v0
	v_mul_f16_e32 v0, 0x3b47, v51
	v_fma_f16 v23, v41, s4, -v0
	v_fma_f16 v0, v41, s4, v0
	v_add_f16_e32 v23, v22, v23
	v_add_f16_e32 v22, v24, v0
	v_pk_mul_f16 v0, v42, s10 op_sel_hi:[1,0]
	v_pk_fma_f16 v25, v43, s12, v0 op_sel:[0,0,1] op_sel_hi:[1,0,0]
	v_pk_fma_f16 v0, v43, s12, v0 op_sel:[0,0,1] op_sel_hi:[1,0,0] neg_lo:[1,0,0] neg_hi:[1,0,0]
	v_pk_mul_f16 v24, v44, s11 op_sel_hi:[1,0]
	v_pk_fma_f16 v42, v45, s13, v24 op_sel:[0,0,1] op_sel_hi:[1,0,0]
	v_pk_fma_f16 v24, v45, s13, v24 op_sel:[0,0,1] op_sel_hi:[1,0,0] neg_lo:[1,0,0] neg_hi:[1,0,0]
	v_pk_add_f16 v0, v12, v0 op_sel:[1,0] op_sel_hi:[0,1]
	v_pk_add_f16 v0, v0, v24
	v_pk_mul_f16 v24, v46, s5 op_sel_hi:[1,0]
	v_pk_fma_f16 v43, v47, s1, v24 op_sel:[0,0,1] op_sel_hi:[1,0,0]
	v_pk_fma_f16 v24, v47, s1, v24 op_sel:[0,0,1] op_sel_hi:[1,0,0] neg_lo:[1,0,0] neg_hi:[1,0,0]
	v_pk_add_f16 v0, v0, v24
	s_movk_i32 s1, 0x3b47
	v_pk_mul_f16 v24, v48, s4 op_sel_hi:[1,0]
	v_pk_fma_f16 v44, v49, s1, v24 op_sel:[0,0,1] op_sel_hi:[1,0,0]
	v_pk_fma_f16 v24, v49, s1, v24 op_sel:[0,0,1] op_sel_hi:[1,0,0] neg_lo:[1,0,0] neg_hi:[1,0,0]
	v_pk_add_f16 v0, v0, v24
	v_pk_mul_f16 v24, v50, s7 op_sel_hi:[1,0]
	v_pk_fma_f16 v45, v51, s0, v24 op_sel:[0,0,1] op_sel_hi:[1,0,0]
	v_pk_fma_f16 v24, v51, s0, v24 op_sel:[0,0,1] op_sel_hi:[1,0,0] neg_lo:[1,0,0] neg_hi:[1,0,0]
	v_pk_add_f16 v24, v0, v24
	v_add_f16_sdwa v0, v12, v25 dst_sel:DWORD dst_unused:UNUSED_PAD src0_sel:DWORD src1_sel:WORD_1
	v_add_f16_sdwa v25, v12, v25 dst_sel:DWORD dst_unused:UNUSED_PAD src0_sel:WORD_1 src1_sel:DWORD
	v_add_f16_sdwa v0, v0, v42 dst_sel:DWORD dst_unused:UNUSED_PAD src0_sel:DWORD src1_sel:WORD_1
	v_add_f16_e32 v25, v25, v42
	v_and_b32_e32 v11, 1, v11
	v_add_f16_sdwa v0, v0, v43 dst_sel:DWORD dst_unused:UNUSED_PAD src0_sel:DWORD src1_sel:WORD_1
	v_add_f16_e32 v25, v25, v43
	v_mov_b32_e32 v42, 0x302
	v_cmp_eq_u32_e64 s[0:1], 1, v11
	v_fma_f16 v60, v50, s4, v59
	v_add_f16_sdwa v0, v0, v44 dst_sel:DWORD dst_unused:UNUSED_PAD src0_sel:DWORD src1_sel:WORD_1
	v_add_f16_e32 v25, v25, v44
	v_cndmask_b32_e64 v42, 0, v42, s[0:1]
	s_movk_i32 s0, 0x46
	v_add_f16_e32 v8, v8, v60
	v_add_f16_e32 v25, v25, v45
	v_add_f16_sdwa v11, v0, v45 dst_sel:DWORD dst_unused:UNUSED_PAD src0_sel:DWORD src1_sel:WORD_1
	v_cmp_gt_u32_e64 s[0:1], s0, v4
	v_lshlrev_b32_e32 v0, 2, v42
	s_and_saveexec_b64 s[4:5], s[0:1]
	s_cbranch_execz .LBB0_15
; %bb.14:
	v_mul_f16_e32 v15, 0xb853, v15
	v_mul_f16_e32 v34, 0x3abb, v34
	;; [unrolled: 1-line block ×3, first 2 shown]
	v_add_f16_e32 v32, v34, v32
	v_sub_f16_e32 v14, v14, v15
	v_mul_f16_e32 v27, 0xbbeb, v27
	v_add_f16_sdwa v32, v12, v32 dst_sel:DWORD dst_unused:UNUSED_PAD src0_sel:WORD_1 src1_sel:DWORD
	v_add_f16_e32 v12, v12, v14
	v_sub_f16_e32 v14, v16, v17
	v_mul_f16_e32 v29, 0xba0c, v29
	v_add_f16_e32 v12, v12, v14
	v_sub_f16_e32 v14, v26, v27
	v_mul_f16_e32 v35, 0x36a6, v35
	v_mul_f16_e32 v31, 0xb482, v31
	v_add_f16_e32 v12, v12, v14
	v_sub_f16_e32 v14, v28, v29
	v_mul_f16_e32 v37, 0xb08e, v37
	v_add_f16_e32 v33, v35, v33
	v_add_f16_e32 v12, v12, v14
	v_sub_f16_e32 v14, v30, v31
	v_mul_f16_e32 v39, 0xb93d, v39
	v_add_f16_e32 v32, v32, v33
	v_add_f16_e32 v33, v37, v36
	;; [unrolled: 1-line block ×3, first 2 shown]
	v_mul_u32_u24_e32 v14, 44, v4
	s_mov_b32 s0, 0x5040100
	v_mul_f16_e32 v41, 0xbbad, v41
	v_add_f16_e32 v32, v32, v33
	v_add_f16_e32 v33, v39, v38
	v_add3_u32 v14, 0, v14, v0
	v_perm_b32 v15, v18, v5, s0
	v_add_f16_e32 v32, v32, v33
	v_add_f16_e32 v33, v41, v40
	ds_write2_b32 v14, v15, v6 offset0:1 offset1:2
	v_perm_b32 v15, v23, v8, s0
	v_perm_b32 v16, v20, v7, s0
	v_add_f16_e32 v32, v32, v33
	ds_write2_b32 v14, v16, v15 offset0:3 offset1:4
	v_perm_b32 v15, v24, v11, s0
	v_alignbit_b32 v16, v25, v24, 16
	ds_write2_b32 v14, v15, v16 offset0:5 offset1:6
	v_perm_b32 v15, v21, v10, s0
	v_perm_b32 v16, v22, v9, s0
	v_pack_b32_f16 v12, v12, v32
	ds_write_b32 v14, v13
	ds_write2_b32 v14, v16, v15 offset0:7 offset1:8
	ds_write2_b32 v14, v19, v12 offset0:9 offset1:10
.LBB0_15:
	s_or_b64 exec, exec, s[4:5]
	s_movk_i32 s0, 0x4d
	v_cmp_gt_u32_e64 s[0:1], s0, v4
	v_lshrrev_b32_e32 v15, 16, v6
	v_lshrrev_b32_e32 v12, 16, v24
	v_lshlrev_b32_e32 v14, 2, v4
	s_waitcnt lgkmcnt(0)
	s_barrier
	s_and_saveexec_b64 s[4:5], s[0:1]
	s_cbranch_execz .LBB0_17
; %bb.16:
	v_add3_u32 v15, 0, v14, v0
	v_add_u32_e32 v7, 0x800, v15
	ds_read2_b32 v[9:10], v7 offset0:27 offset1:104
	v_add_u32_e32 v7, 0x200, v15
	v_add_u32_e32 v11, 0x400, v15
	v_add3_u32 v13, 0, v0, v14
	ds_read2_b32 v[5:6], v15 offset0:77 offset1:154
	ds_read2_b32 v[7:8], v7 offset0:103 offset1:180
	;; [unrolled: 1-line block ×3, first 2 shown]
	ds_read_b32 v13, v13
	ds_read_b32 v19, v15 offset:2772
	s_waitcnt lgkmcnt(5)
	v_lshrrev_b32_e32 v21, 16, v10
	s_waitcnt lgkmcnt(4)
	v_lshrrev_b32_e32 v18, 16, v5
	v_lshrrev_b32_e32 v15, 16, v6
	s_waitcnt lgkmcnt(3)
	v_lshrrev_b32_e32 v20, 16, v7
	;; [unrolled: 3-line block ×3, first 2 shown]
	v_lshrrev_b32_e32 v25, 16, v12
	v_lshrrev_b32_e32 v22, 16, v9
.LBB0_17:
	s_or_b64 exec, exec, s[4:5]
	s_waitcnt lgkmcnt(0)
	s_barrier
	s_and_saveexec_b64 s[4:5], s[0:1]
	s_cbranch_execz .LBB0_19
; %bb.18:
	s_movk_i32 s0, 0x75
	v_mul_lo_u16_sdwa v16, v4, s0 dst_sel:DWORD dst_unused:UNUSED_PAD src0_sel:BYTE_0 src1_sel:DWORD
	v_sub_u16_sdwa v17, v4, v16 dst_sel:DWORD dst_unused:UNUSED_PAD src0_sel:DWORD src1_sel:BYTE_1
	v_lshrrev_b16_e32 v17, 1, v17
	v_and_b32_e32 v17, 0x7f, v17
	v_add_u16_sdwa v16, v17, v16 dst_sel:DWORD dst_unused:UNUSED_PAD src0_sel:DWORD src1_sel:BYTE_1
	v_lshrrev_b16_e32 v16, 3, v16
	v_mul_lo_u16_e32 v17, 11, v16
	v_sub_u16_e32 v17, v4, v17
	v_mov_b32_e32 v26, 9
	v_mul_u32_u24_sdwa v26, v17, v26 dst_sel:DWORD dst_unused:UNUSED_PAD src0_sel:BYTE_0 src1_sel:DWORD
	v_lshlrev_b32_e32 v34, 2, v26
	global_load_dwordx4 v[26:29], v34, s[8:9]
	global_load_dwordx4 v[30:33], v34, s[8:9] offset:16
	global_load_dword v35, v34, s[8:9] offset:32
	v_lshrrev_b32_e32 v36, 16, v19
	v_lshrrev_b32_e32 v34, 16, v13
	s_mov_b32 s0, 0xbb9c
	s_movk_i32 s7, 0x3b9c
	s_mov_b32 s1, 0xb8b4
	s_movk_i32 s10, 0x38b4
	s_movk_i32 s6, 0x34f2
	;; [unrolled: 1-line block ×3, first 2 shown]
	s_mov_b32 s12, 0xb4f2
	s_mov_b32 s11, 0xba79
	s_waitcnt vmcnt(2)
	v_mul_f16_sdwa v37, v6, v27 dst_sel:DWORD dst_unused:UNUSED_PAD src0_sel:DWORD src1_sel:WORD_1
	v_mul_f16_sdwa v38, v8, v29 dst_sel:DWORD dst_unused:UNUSED_PAD src0_sel:DWORD src1_sel:WORD_1
	s_waitcnt vmcnt(1)
	v_mul_f16_sdwa v39, v10, v33 dst_sel:DWORD dst_unused:UNUSED_PAD src0_sel:DWORD src1_sel:WORD_1
	v_mul_f16_sdwa v40, v12, v31 dst_sel:DWORD dst_unused:UNUSED_PAD src0_sel:DWORD src1_sel:WORD_1
	;; [unrolled: 1-line block ×8, first 2 shown]
	s_waitcnt vmcnt(0)
	v_mul_f16_sdwa v47, v36, v35 dst_sel:DWORD dst_unused:UNUSED_PAD src0_sel:DWORD src1_sel:WORD_1
	v_mul_f16_sdwa v48, v22, v32 dst_sel:DWORD dst_unused:UNUSED_PAD src0_sel:DWORD src1_sel:WORD_1
	;; [unrolled: 1-line block ×7, first 2 shown]
	v_fma_f16 v15, v15, v27, -v37
	v_fma_f16 v23, v23, v29, -v38
	;; [unrolled: 1-line block ×4, first 2 shown]
	v_mul_f16_sdwa v51, v19, v35 dst_sel:DWORD dst_unused:UNUSED_PAD src0_sel:DWORD src1_sel:WORD_1
	v_fma_f16 v6, v6, v27, v41
	v_fma_f16 v10, v10, v33, v42
	;; [unrolled: 1-line block ×8, first 2 shown]
	v_fma_f16 v20, v20, v28, -v50
	v_fma_f16 v24, v24, v30, -v52
	;; [unrolled: 1-line block ×4, first 2 shown]
	v_sub_f16_e32 v26, v15, v23
	v_sub_f16_e32 v28, v21, v25
	v_add_f16_e32 v29, v23, v25
	v_fma_f16 v12, v12, v31, v44
	v_fma_f16 v27, v36, v35, -v51
	v_sub_f16_e32 v30, v6, v10
	v_sub_f16_e32 v32, v7, v11
	;; [unrolled: 1-line block ×3, first 2 shown]
	v_add_f16_e32 v35, v11, v9
	v_add_f16_e32 v40, v24, v22
	;; [unrolled: 1-line block ×3, first 2 shown]
	v_fma_f16 v28, v29, -0.5, v34
	v_sub_f16_e32 v31, v8, v12
	v_add_f16_e32 v29, v32, v33
	v_fma_f16 v32, v35, -0.5, v5
	v_fma_f16 v35, v40, -0.5, v18
	v_fma_f16 v40, v30, s0, v28
	v_fma_f16 v28, v30, s7, v28
	v_sub_f16_e32 v36, v20, v27
	v_sub_f16_e32 v38, v20, v24
	;; [unrolled: 1-line block ×5, first 2 shown]
	v_fma_f16 v40, v31, s1, v40
	v_fma_f16 v28, v31, s10, v28
	v_sub_f16_e32 v37, v24, v22
	v_add_f16_e32 v33, v38, v39
	v_add_f16_e32 v38, v43, v44
	v_fma_f16 v43, v36, s7, v32
	v_fma_f16 v40, v26, s6, v40
	;; [unrolled: 1-line block ×4, first 2 shown]
	v_sub_f16_e32 v41, v7, v19
	v_fma_f16 v43, v37, s10, v43
	v_sub_f16_e32 v51, v24, v20
	v_sub_f16_e32 v52, v22, v27
	v_fma_f16 v28, v37, s1, v28
	v_sub_f16_e32 v42, v11, v9
	v_add_f16_e32 v45, v15, v21
	v_fma_f16 v44, v41, s0, v35
	v_fma_f16 v43, v29, s6, v43
	v_add_f16_e32 v51, v51, v52
	v_add_f16_e32 v52, v20, v27
	v_fma_f16 v28, v29, s6, v28
	v_fma_f16 v29, v41, s7, v35
	v_sub_f16_e32 v46, v11, v7
	v_fma_f16 v39, v45, -0.5, v34
	v_fma_f16 v44, v42, s1, v44
	v_sub_f16_e32 v49, v9, v19
	v_fma_f16 v52, v52, -0.5, v18
	v_fma_f16 v29, v42, s10, v29
	v_add_f16_e32 v18, v18, v20
	v_fma_f16 v45, v31, s7, v39
	v_fma_f16 v44, v33, s6, v44
	v_add_f16_e32 v46, v46, v49
	v_add_f16_e32 v49, v7, v19
	v_fma_f16 v39, v31, s0, v39
	v_fma_f16 v29, v33, s6, v29
	v_add_f16_e32 v32, v34, v15
	v_add_f16_e32 v18, v18, v24
	v_sub_f16_e32 v33, v8, v6
	v_sub_f16_e32 v34, v12, v10
	v_fma_f16 v45, v30, s1, v45
	v_fma_f16 v49, v49, -0.5, v5
	v_fma_f16 v39, v30, s10, v39
	v_add_f16_e32 v18, v18, v22
	v_sub_f16_e32 v22, v6, v8
	v_sub_f16_e32 v24, v10, v12
	v_add_f16_e32 v33, v33, v34
	v_add_f16_e32 v34, v6, v10
	v_fma_f16 v45, v38, s6, v45
	v_fma_f16 v50, v37, s0, v49
	;; [unrolled: 1-line block ×4, first 2 shown]
	v_add_f16_e32 v32, v32, v23
	v_add_f16_e32 v22, v22, v24
	v_add_f16_e32 v24, v8, v12
	v_sub_f16_e32 v23, v23, v25
	v_fma_f16 v34, v34, -0.5, v13
	v_fma_f16 v50, v36, s10, v50
	v_fma_f16 v39, v36, s1, v39
	v_add_f16_e32 v32, v32, v25
	v_fma_f16 v24, v24, -0.5, v13
	v_sub_f16_e32 v15, v15, v21
	v_fma_f16 v35, v23, s0, v34
	v_fma_f16 v34, v23, s7, v34
	v_add_f16_e32 v6, v13, v6
	v_add_f16_e32 v5, v5, v7
	v_fma_f16 v50, v46, s6, v50
	v_fma_f16 v53, v42, s7, v52
	;; [unrolled: 1-line block ×4, first 2 shown]
	v_add_f16_e32 v32, v32, v21
	v_fma_f16 v21, v15, s7, v24
	v_fma_f16 v35, v15, s10, v35
	;; [unrolled: 1-line block ×4, first 2 shown]
	v_add_f16_e32 v6, v6, v8
	v_add_f16_e32 v5, v5, v11
	v_fma_f16 v53, v41, s1, v53
	v_fma_f16 v46, v41, s10, v46
	;; [unrolled: 1-line block ×4, first 2 shown]
	v_add_f16_e32 v6, v6, v12
	v_add_f16_e32 v5, v5, v9
	v_fma_f16 v53, v51, s6, v53
	v_fma_f16 v46, v51, s6, v46
	v_mul_f16_e32 v30, 0x3a79, v29
	v_fma_f16 v21, v22, s6, v21
	v_fma_f16 v15, v22, s6, v15
	v_mul_f16_e32 v22, 0xb8b4, v29
	v_add_f16_e32 v6, v6, v10
	v_add_f16_e32 v5, v5, v19
	s_movk_i32 s0, 0x1b8
	v_mul_f16_e32 v54, 0xb4f2, v53
	v_mul_f16_e32 v49, 0x34f2, v46
	v_fma_f16 v30, v28, s10, v30
	v_add_f16_e32 v18, v18, v27
	v_fma_f16 v35, v33, s6, v35
	v_mul_f16_e32 v36, 0xbb9c, v53
	v_fma_f16 v33, v33, s6, v34
	v_mul_f16_e32 v34, 0xbb9c, v46
	v_fma_f16 v22, v28, s13, v22
	v_sub_f16_e32 v7, v6, v5
	v_add_f16_e32 v5, v6, v5
	v_mad_u32_u24 v6, v16, s0, 0
	v_mov_b32_e32 v16, 2
	v_mul_f16_e32 v47, 0xba79, v44
	v_fma_f16 v54, v50, s7, v54
	v_fma_f16 v49, v39, s7, v49
	v_mul_f16_e32 v25, 0xb8b4, v44
	v_fma_f16 v36, v50, s12, v36
	v_fma_f16 v34, v39, s6, v34
	v_sub_f16_e32 v23, v15, v22
	v_add_f16_e32 v11, v26, v30
	v_add_f16_e32 v12, v32, v18
	;; [unrolled: 1-line block ×3, first 2 shown]
	v_lshlrev_b32_sdwa v16, v16, v17 dst_sel:DWORD dst_unused:UNUSED_PAD src0_sel:DWORD src1_sel:BYTE_0
	v_fma_f16 v47, v43, s10, v47
	v_sub_f16_e32 v20, v32, v18
	v_fma_f16 v25, v43, s11, v25
	v_add_f16_e32 v9, v45, v54
	v_add_f16_e32 v10, v38, v49
	;; [unrolled: 1-line block ×4, first 2 shown]
	v_add3_u32 v6, v6, v16, v0
	v_pack_b32_f16 v5, v5, v12
	v_pack_b32_f16 v11, v15, v11
	v_add_f16_e32 v8, v40, v47
	v_add_f16_e32 v13, v21, v25
	ds_write2_b32 v6, v5, v11 offset1:11
	v_pack_b32_f16 v5, v19, v10
	v_pack_b32_f16 v9, v18, v9
	v_sub_f16_e32 v51, v38, v49
	v_sub_f16_e32 v31, v26, v30
	;; [unrolled: 1-line block ×3, first 2 shown]
	ds_write2_b32 v6, v5, v9 offset0:22 offset1:33
	v_pack_b32_f16 v5, v13, v8
	v_pack_b32_f16 v7, v7, v20
	v_sub_f16_e32 v48, v40, v47
	v_sub_f16_e32 v55, v45, v54
	;; [unrolled: 1-line block ×4, first 2 shown]
	ds_write2_b32 v6, v5, v7 offset0:44 offset1:55
	v_pack_b32_f16 v5, v23, v31
	v_pack_b32_f16 v7, v39, v51
	ds_write2_b32 v6, v5, v7 offset0:66 offset1:77
	v_pack_b32_f16 v5, v37, v55
	v_pack_b32_f16 v7, v27, v48
	ds_write2_b32 v6, v5, v7 offset0:88 offset1:99
.LBB0_19:
	s_or_b64 exec, exec, s[4:5]
	s_waitcnt lgkmcnt(0)
	s_barrier
	s_and_saveexec_b64 s[0:1], vcc
	s_cbranch_execz .LBB0_21
; %bb.20:
	v_mul_u32_u24_e32 v4, 6, v4
	v_lshlrev_b32_e32 v10, 2, v4
	global_load_dwordx4 v[4:7], v10, s[8:9] offset:396
	global_load_dwordx2 v[8:9], v10, s[8:9] offset:412
	v_add3_u32 v12, 0, v14, v0
	ds_read2_b32 v[10:11], v12 offset0:110 offset1:220
	v_add3_u32 v0, 0, v0, v14
	v_add_u32_e32 v13, 0x800, v12
	v_add_u32_e32 v14, 0x400, v12
	ds_read2_b32 v[12:13], v13 offset0:38 offset1:148
	ds_read2_b32 v[14:15], v14 offset0:74 offset1:184
	ds_read_b32 v0, v0
	s_waitcnt lgkmcnt(3)
	v_lshrrev_b32_e32 v16, 16, v10
	v_lshrrev_b32_e32 v17, 16, v11
	s_waitcnt lgkmcnt(2)
	v_lshrrev_b32_e32 v18, 16, v13
	v_lshrrev_b32_e32 v21, 16, v12
	;; [unrolled: 3-line block ×3, first 2 shown]
	s_movk_i32 s4, 0x3a52
	s_mov_b32 s5, 0xbcab
	s_mov_b32 s0, 0xb574
	;; [unrolled: 1-line block ×3, first 2 shown]
	s_waitcnt vmcnt(1)
	v_mul_f16_sdwa v22, v4, v16 dst_sel:DWORD dst_unused:UNUSED_PAD src0_sel:WORD_1 src1_sel:DWORD
	s_waitcnt vmcnt(0)
	v_mul_f16_sdwa v23, v9, v18 dst_sel:DWORD dst_unused:UNUSED_PAD src0_sel:WORD_1 src1_sel:DWORD
	v_mul_f16_sdwa v26, v5, v17 dst_sel:DWORD dst_unused:UNUSED_PAD src0_sel:WORD_1 src1_sel:DWORD
	;; [unrolled: 1-line block ×11, first 2 shown]
	v_fma_f16 v10, v4, v10, v22
	v_fma_f16 v13, v9, v13, v23
	;; [unrolled: 1-line block ×4, first 2 shown]
	v_fma_f16 v9, v9, v18, -v28
	v_fma_f16 v4, v4, v16, -v29
	;; [unrolled: 1-line block ×4, first 2 shown]
	v_fma_f16 v15, v7, v15, v24
	v_fma_f16 v14, v6, v14, v25
	v_fma_f16 v6, v6, v20, -v30
	v_fma_f16 v7, v7, v19, -v31
	v_sub_f16_e32 v16, v10, v13
	v_sub_f16_e32 v18, v11, v12
	v_add_f16_e32 v19, v4, v9
	v_add_f16_e32 v21, v5, v8
	;; [unrolled: 1-line block ×4, first 2 shown]
	v_sub_f16_e32 v17, v15, v14
	v_add_f16_e32 v20, v7, v6
	v_add_f16_e32 v13, v15, v14
	v_sub_f16_e32 v4, v4, v9
	v_sub_f16_e32 v6, v7, v6
	v_sub_f16_e32 v5, v5, v8
	v_add_f16_e32 v15, v19, v21
	v_add_f16_e32 v23, v10, v11
	v_sub_f16_e32 v7, v16, v17
	v_sub_f16_e32 v8, v17, v18
	v_add_f16_e32 v9, v17, v18
	v_sub_f16_e32 v14, v20, v21
	v_sub_f16_e32 v17, v10, v13
	;; [unrolled: 1-line block ×5, first 2 shown]
	v_add_f16_e32 v6, v6, v5
	v_add_f16_e32 v15, v20, v15
	;; [unrolled: 1-line block ×3, first 2 shown]
	v_sub_f16_e32 v12, v19, v20
	v_mul_f16_e32 v14, 0x2b26, v14
	v_mul_f16_e32 v22, 0x2b26, v22
	s_waitcnt lgkmcnt(0)
	v_add_f16_sdwa v27, v15, v0 dst_sel:DWORD dst_unused:UNUSED_PAD src0_sel:DWORD src1_sel:WORD_1
	v_add_f16_e32 v28, v13, v0
	v_add_f16_e32 v6, v4, v6
	v_sub_f16_e32 v4, v5, v4
	v_mul_f16_e32 v8, 0x3846, v8
	v_add_f16_e32 v9, v16, v9
	v_mul_f16_e32 v26, 0x3a52, v12
	v_mul_f16_e32 v20, 0x3a52, v17
	v_mul_f16_e32 v23, 0x3846, v25
	v_fma_f16 v12, v12, s4, v14
	v_fma_f16 v17, v17, s4, v22
	;; [unrolled: 1-line block ×4, first 2 shown]
	v_sub_f16_e32 v16, v18, v16
	s_movk_i32 s4, 0x3574
	s_mov_b32 s5, 0xb9e0
	v_sub_f16_e32 v10, v11, v10
	v_mul_f16_e32 v5, 0xbb00, v4
	v_fma_f16 v25, v7, s0, v8
	v_fma_f16 v0, v24, s0, v23
	v_mul_f16_e32 v18, 0xbb00, v16
	v_fma_f16 v11, v10, s5, -v20
	v_fma_f16 v5, v24, s4, -v5
	v_fma_f16 v25, v9, s1, v25
	v_add_f16_e32 v12, v12, v15
	v_add_f16_e32 v17, v17, v13
	v_fma_f16 v0, v6, s1, v0
	s_mov_b32 s0, 0xbb00
	v_fma_f16 v7, v7, s4, -v18
	v_add_f16_e32 v11, v11, v13
	v_fma_f16 v5, v6, s1, v5
	s_movk_i32 s4, 0x39e0
	v_add_f16_e32 v29, v25, v12
	v_sub_f16_e32 v30, v17, v0
	v_sub_f16_e32 v20, v11, v5
	v_fma_f16 v10, v10, s4, -v22
	v_fma_f16 v4, v4, s0, -v23
	v_add_f16_e32 v5, v5, v11
	v_sub_f16_e32 v11, v12, v25
	v_add_f16_e32 v12, v0, v17
	v_lshlrev_b64 v[0:1], 2, v[1:2]
	v_add_f16_e32 v10, v10, v13
	v_fma_f16 v4, v6, s1, v4
	v_add_f16_e32 v6, v4, v10
	v_sub_f16_e32 v10, v10, v4
	v_mov_b32_e32 v4, 0
	v_mov_b32_e32 v2, s3
	v_add_co_u32_e32 v13, vcc, s2, v0
	v_addc_co_u32_e32 v2, vcc, v2, v1, vcc
	v_lshlrev_b64 v[0:1], 2, v[3:4]
	v_sub_f16_e32 v18, v21, v19
	v_fma_f16 v19, v18, s5, -v26
	v_add_co_u32_e32 v0, vcc, v13, v0
	v_fma_f16 v7, v9, s1, v7
	v_add_f16_e32 v19, v19, v15
	v_fma_f16 v14, v18, s4, -v14
	v_fma_f16 v8, v16, s0, -v8
	v_addc_co_u32_e32 v1, vcc, v2, v1, vcc
	v_pack_b32_f16 v2, v28, v27
	v_add_f16_e32 v21, v7, v19
	v_add_f16_e32 v14, v14, v15
	v_fma_f16 v8, v9, s1, v8
	v_sub_f16_e32 v7, v19, v7
	global_store_dword v[0:1], v2, off
	v_pack_b32_f16 v2, v12, v11
	v_sub_f16_e32 v9, v14, v8
	v_add_f16_e32 v8, v8, v14
	global_store_dword v[0:1], v2, off offset:440
	v_pack_b32_f16 v2, v5, v7
	global_store_dword v[0:1], v2, off offset:880
	v_pack_b32_f16 v2, v10, v8
	;; [unrolled: 2-line block ×5, first 2 shown]
	global_store_dword v[0:1], v2, off offset:2640
.LBB0_21:
	s_endpgm
	.section	.rodata,"a",@progbits
	.p2align	6, 0x0
	.amdhsa_kernel fft_rtc_back_len770_factors_11_10_7_wgs_220_tpt_110_half_ip_CI_unitstride_sbrr_dirReg
		.amdhsa_group_segment_fixed_size 0
		.amdhsa_private_segment_fixed_size 0
		.amdhsa_kernarg_size 88
		.amdhsa_user_sgpr_count 6
		.amdhsa_user_sgpr_private_segment_buffer 1
		.amdhsa_user_sgpr_dispatch_ptr 0
		.amdhsa_user_sgpr_queue_ptr 0
		.amdhsa_user_sgpr_kernarg_segment_ptr 1
		.amdhsa_user_sgpr_dispatch_id 0
		.amdhsa_user_sgpr_flat_scratch_init 0
		.amdhsa_user_sgpr_private_segment_size 0
		.amdhsa_uses_dynamic_stack 0
		.amdhsa_system_sgpr_private_segment_wavefront_offset 0
		.amdhsa_system_sgpr_workgroup_id_x 1
		.amdhsa_system_sgpr_workgroup_id_y 0
		.amdhsa_system_sgpr_workgroup_id_z 0
		.amdhsa_system_sgpr_workgroup_info 0
		.amdhsa_system_vgpr_workitem_id 0
		.amdhsa_next_free_vgpr 61
		.amdhsa_next_free_sgpr 22
		.amdhsa_reserve_vcc 1
		.amdhsa_reserve_flat_scratch 0
		.amdhsa_float_round_mode_32 0
		.amdhsa_float_round_mode_16_64 0
		.amdhsa_float_denorm_mode_32 3
		.amdhsa_float_denorm_mode_16_64 3
		.amdhsa_dx10_clamp 1
		.amdhsa_ieee_mode 1
		.amdhsa_fp16_overflow 0
		.amdhsa_exception_fp_ieee_invalid_op 0
		.amdhsa_exception_fp_denorm_src 0
		.amdhsa_exception_fp_ieee_div_zero 0
		.amdhsa_exception_fp_ieee_overflow 0
		.amdhsa_exception_fp_ieee_underflow 0
		.amdhsa_exception_fp_ieee_inexact 0
		.amdhsa_exception_int_div_zero 0
	.end_amdhsa_kernel
	.text
.Lfunc_end0:
	.size	fft_rtc_back_len770_factors_11_10_7_wgs_220_tpt_110_half_ip_CI_unitstride_sbrr_dirReg, .Lfunc_end0-fft_rtc_back_len770_factors_11_10_7_wgs_220_tpt_110_half_ip_CI_unitstride_sbrr_dirReg
                                        ; -- End function
	.section	.AMDGPU.csdata,"",@progbits
; Kernel info:
; codeLenInByte = 5992
; NumSgprs: 26
; NumVgprs: 61
; ScratchSize: 0
; MemoryBound: 0
; FloatMode: 240
; IeeeMode: 1
; LDSByteSize: 0 bytes/workgroup (compile time only)
; SGPRBlocks: 3
; VGPRBlocks: 15
; NumSGPRsForWavesPerEU: 26
; NumVGPRsForWavesPerEU: 61
; Occupancy: 4
; WaveLimiterHint : 1
; COMPUTE_PGM_RSRC2:SCRATCH_EN: 0
; COMPUTE_PGM_RSRC2:USER_SGPR: 6
; COMPUTE_PGM_RSRC2:TRAP_HANDLER: 0
; COMPUTE_PGM_RSRC2:TGID_X_EN: 1
; COMPUTE_PGM_RSRC2:TGID_Y_EN: 0
; COMPUTE_PGM_RSRC2:TGID_Z_EN: 0
; COMPUTE_PGM_RSRC2:TIDIG_COMP_CNT: 0
	.type	__hip_cuid_b3e7ef9baea61f78,@object ; @__hip_cuid_b3e7ef9baea61f78
	.section	.bss,"aw",@nobits
	.globl	__hip_cuid_b3e7ef9baea61f78
__hip_cuid_b3e7ef9baea61f78:
	.byte	0                               ; 0x0
	.size	__hip_cuid_b3e7ef9baea61f78, 1

	.ident	"AMD clang version 19.0.0git (https://github.com/RadeonOpenCompute/llvm-project roc-6.4.0 25133 c7fe45cf4b819c5991fe208aaa96edf142730f1d)"
	.section	".note.GNU-stack","",@progbits
	.addrsig
	.addrsig_sym __hip_cuid_b3e7ef9baea61f78
	.amdgpu_metadata
---
amdhsa.kernels:
  - .args:
      - .actual_access:  read_only
        .address_space:  global
        .offset:         0
        .size:           8
        .value_kind:     global_buffer
      - .offset:         8
        .size:           8
        .value_kind:     by_value
      - .actual_access:  read_only
        .address_space:  global
        .offset:         16
        .size:           8
        .value_kind:     global_buffer
      - .actual_access:  read_only
        .address_space:  global
        .offset:         24
        .size:           8
        .value_kind:     global_buffer
      - .offset:         32
        .size:           8
        .value_kind:     by_value
      - .actual_access:  read_only
        .address_space:  global
        .offset:         40
        .size:           8
        .value_kind:     global_buffer
      - .actual_access:  read_only
        .address_space:  global
        .offset:         48
        .size:           8
        .value_kind:     global_buffer
      - .offset:         56
        .size:           4
        .value_kind:     by_value
      - .actual_access:  read_only
        .address_space:  global
        .offset:         64
        .size:           8
        .value_kind:     global_buffer
      - .actual_access:  read_only
        .address_space:  global
        .offset:         72
        .size:           8
        .value_kind:     global_buffer
      - .address_space:  global
        .offset:         80
        .size:           8
        .value_kind:     global_buffer
    .group_segment_fixed_size: 0
    .kernarg_segment_align: 8
    .kernarg_segment_size: 88
    .language:       OpenCL C
    .language_version:
      - 2
      - 0
    .max_flat_workgroup_size: 220
    .name:           fft_rtc_back_len770_factors_11_10_7_wgs_220_tpt_110_half_ip_CI_unitstride_sbrr_dirReg
    .private_segment_fixed_size: 0
    .sgpr_count:     26
    .sgpr_spill_count: 0
    .symbol:         fft_rtc_back_len770_factors_11_10_7_wgs_220_tpt_110_half_ip_CI_unitstride_sbrr_dirReg.kd
    .uniform_work_group_size: 1
    .uses_dynamic_stack: false
    .vgpr_count:     61
    .vgpr_spill_count: 0
    .wavefront_size: 64
amdhsa.target:   amdgcn-amd-amdhsa--gfx906
amdhsa.version:
  - 1
  - 2
...

	.end_amdgpu_metadata
